;; amdgpu-corpus repo=ROCm/bitsandbytes kind=harvested arch=n/a opt=n/a
	.text
	.amdgcn_target "amdgcn-amd-amdhsa--gfx90a"
	.amdhsa_code_object_version 6
	.protected	_Z33kPreconditionOptimizer32bit1StateIfLi5ELi4096ELi8EEvPT_S1_PfS2_ffffiffi ; -- Begin function _Z33kPreconditionOptimizer32bit1StateIfLi5ELi4096ELi8EEvPT_S1_PfS2_ffffiffi
	.globl	_Z33kPreconditionOptimizer32bit1StateIfLi5ELi4096ELi8EEvPT_S1_PfS2_ffffiffi
	.p2align	8
	.type	_Z33kPreconditionOptimizer32bit1StateIfLi5ELi4096ELi8EEvPT_S1_PfS2_ffffiffi,@function
_Z33kPreconditionOptimizer32bit1StateIfLi5ELi4096ELi8EEvPT_S1_PfS2_ffffiffi: ; @_Z33kPreconditionOptimizer32bit1StateIfLi5ELi4096ELi8EEvPT_S1_PfS2_ffffiffi
; %bb.0:
	s_load_dwordx2 s[24:25], s[4:5], 0x38
	s_load_dword s2, s[4:5], 0x4c
	s_mov_b32 s27, 0
	s_waitcnt lgkmcnt(0)
	s_ashr_i32 s0, s25, 31
	s_lshr_b32 s0, s0, 20
	s_add_i32 s0, s25, s0
	s_and_b32 s1, s25, 0xfff
	s_and_b32 s3, s0, 0xfffff000
	s_cmp_lg_u32 s1, 0
	s_cselect_b64 s[0:1], -1, 0
	v_cndmask_b32_e64 v1, 0, 1, s[0:1]
	v_readfirstlane_b32 s0, v1
	s_lshl_b32 s30, s0, 12
	s_add_i32 s30, s30, s3
	s_add_u32 s0, s4, 64
	s_addc_u32 s1, s5, 0
	s_and_b32 s2, s2, 0xffff
	s_mul_i32 s6, s6, s2
	s_lshl_b32 s26, s6, 3
	s_cmp_ge_u32 s26, s30
	s_cbranch_scc1 .LBB45_46
; %bb.1:
	v_mbcnt_lo_u32_b32 v1, -1, 0
	v_lshlrev_b32_e32 v2, 3, v0
	v_mbcnt_hi_u32_b32 v1, -1, v1
	v_and_b32_e32 v2, 0xe00, v2
	v_or_b32_e32 v23, v1, v2
	v_lshlrev_b32_e32 v5, 2, v2
	v_add_u32_e32 v24, 64, v23
	v_lshrrev_b32_e32 v2, 5, v23
	v_or_b32_e32 v25, 0x80, v23
	v_add_lshl_u32 v31, v2, v23, 2
	v_lshrrev_b32_e32 v2, 5, v24
	v_add_u32_e32 v26, 0xc0, v23
	v_add_lshl_u32 v32, v2, v24, 2
	v_lshrrev_b32_e32 v2, 5, v25
	v_or_b32_e32 v27, 0x100, v23
	v_add_lshl_u32 v33, v2, v25, 2
	v_lshrrev_b32_e32 v2, 5, v26
	s_load_dwordx2 s[2:3], s[4:5], 0x0
	s_load_dwordx4 s[20:23], s[4:5], 0x10
	s_load_dword s31, s[4:5], 0x24
	s_load_dword s6, s[0:1], 0x0
	v_add_u32_e32 v28, 0x140, v23
	v_add_lshl_u32 v34, v2, v26, 2
	v_lshrrev_b32_e32 v2, 5, v27
	v_lshlrev_b32_e32 v20, 2, v1
	v_or_b32_e32 v29, 0x180, v23
	v_add_lshl_u32 v35, v2, v27, 2
	v_lshrrev_b32_e32 v2, 5, v28
	s_waitcnt lgkmcnt(0)
	v_mov_b32_e32 v3, s3
	v_add_co_u32_e32 v4, vcc, s2, v20
	v_add_u32_e32 v30, 0x1c0, v23
	v_add_lshl_u32 v36, v2, v28, 2
	v_lshrrev_b32_e32 v2, 5, v29
	v_addc_co_u32_e32 v3, vcc, 0, v3, vcc
	v_add_lshl_u32 v37, v2, v29, 2
	v_lshrrev_b32_e32 v2, 5, v30
	v_and_b32_e32 v39, 0x1c0, v0
	v_add_co_u32_e32 v21, vcc, v4, v5
	v_add_lshl_u32 v38, v2, v30, 2
	v_add_u32_e32 v2, v1, v39
	v_addc_co_u32_e32 v22, vcc, 0, v3, vcc
	v_lshlrev_b32_e32 v3, 3, v2
	v_bfe_u32 v2, v2, 2, 27
	v_add_lshl_u32 v40, v2, v3, 2
	v_mov_b32_e32 v2, s21
	v_add_co_u32_e32 v3, vcc, s20, v20
	v_addc_co_u32_e32 v2, vcc, 0, v2, vcc
	v_add_co_u32_e32 v41, vcc, v3, v5
	v_addc_co_u32_e32 v42, vcc, 0, v2, vcc
	v_and_b32_e32 v2, 63, v1
	v_cmp_ne_u32_e32 vcc, 63, v2
	v_addc_co_u32_e32 v3, vcc, 0, v1, vcc
	v_cmp_gt_u32_e32 vcc, 62, v2
	v_lshlrev_b32_e32 v44, 2, v3
	v_cndmask_b32_e64 v3, 0, 1, vcc
	v_lshlrev_b32_e32 v3, 1, v3
	v_cmp_gt_u32_e32 vcc, 60, v2
	v_add_lshl_u32 v46, v3, v1, 2
	v_cndmask_b32_e64 v3, 0, 1, vcc
	v_lshlrev_b32_e32 v3, 2, v3
	v_cmp_gt_u32_e32 vcc, 56, v2
	v_add_lshl_u32 v48, v3, v1, 2
	;; [unrolled: 4-line block ×3, first 2 shown]
	v_cndmask_b32_e64 v3, 0, 1, vcc
	v_cmp_gt_u32_e32 vcc, 32, v2
	v_cndmask_b32_e64 v2, 0, 1, vcc
	v_lshlrev_b32_e32 v2, 5, v2
	v_add_lshl_u32 v54, v2, v1, 2
	v_lshrrev_b32_e32 v2, 4, v0
	v_and_b32_e32 v56, 28, v2
	v_and_b32_e32 v2, 7, v1
	v_lshlrev_b32_e32 v3, 4, v3
	v_cmp_ne_u32_e64 s[2:3], 7, v2
	v_add_lshl_u32 v52, v3, v1, 2
	v_addc_co_u32_e64 v3, s[2:3], 0, v1, s[2:3]
	v_cmp_gt_u32_e64 s[2:3], 6, v2
	v_lshlrev_b32_e32 v58, 2, v3
	v_cndmask_b32_e64 v3, 0, 1, s[2:3]
	v_cmp_gt_u32_e64 s[2:3], 4, v2
	v_add_u32_e32 v57, 1, v2
	v_add_u32_e32 v59, 2, v2
	;; [unrolled: 1-line block ×3, first 2 shown]
	v_cndmask_b32_e64 v2, 0, 1, s[2:3]
	v_lshlrev_b32_e32 v3, 1, v3
	v_lshlrev_b32_e32 v2, 2, v2
	v_sub_f32_e64 v43, 1.0, s31
	v_add_u32_e32 v45, 1, v1
	v_add_u32_e32 v47, 2, v1
	;; [unrolled: 1-line block ×6, first 2 shown]
	v_cmp_eq_u32_e32 vcc, 0, v1
	v_cmp_gt_u32_e64 s[0:1], 8, v0
	v_add_lshl_u32 v60, v3, v1, 2
	v_add_lshl_u32 v62, v2, v1, 2
	v_cmp_eq_u32_e64 s[2:3], 0, v0
	s_lshl_b32 s33, s6, 12
	v_mov_b32_e32 v1, 0
	s_branch .LBB45_3
.LBB45_2:                               ;   in Loop: Header=BB45_3 Depth=1
	s_or_b64 exec, exec, s[6:7]
	s_add_i32 s26, s26, s33
	s_cmp_ge_u32 s26, s30
	s_cbranch_scc1 .LBB45_46
.LBB45_3:                               ; =>This Loop Header: Depth=1
                                        ;     Child Loop BB45_27 Depth 2
                                        ;     Child Loop BB45_30 Depth 2
	s_sub_i32 s4, s25, s26
	s_lshl_b64 s[20:21], s[26:27], 2
	s_min_u32 s34, s4, 0x1000
	v_mov_b32_e32 v0, s21
	v_add_co_u32_e64 v10, s[4:5], s20, v21
	s_mov_b32 s8, s27
	s_mov_b32 s9, s27
	v_addc_co_u32_e64 v11, s[4:5], v22, v0, s[4:5]
	s_mov_b32 s10, s27
	s_mov_b32 s11, s27
	;; [unrolled: 1-line block ×6, first 2 shown]
	v_pk_mov_b32 v[2:3], s[8:9], s[8:9] op_sel:[0,1]
	v_cmp_gt_u32_e64 s[4:5], s34, v23
	v_pk_mov_b32 v[4:5], s[10:11], s[10:11] op_sel:[0,1]
	v_pk_mov_b32 v[6:7], s[12:13], s[12:13] op_sel:[0,1]
	v_pk_mov_b32 v[8:9], s[14:15], s[14:15] op_sel:[0,1]
	v_mov_b32_e32 v0, 0
	s_barrier
	s_and_saveexec_b64 s[6:7], s[4:5]
	s_cbranch_execnz .LBB45_32
; %bb.4:                                ;   in Loop: Header=BB45_3 Depth=1
	s_or_b64 exec, exec, s[6:7]
	v_cmp_gt_u32_e64 s[6:7], s34, v24
	s_and_saveexec_b64 s[8:9], s[6:7]
	s_cbranch_execnz .LBB45_33
.LBB45_5:                               ;   in Loop: Header=BB45_3 Depth=1
	s_or_b64 exec, exec, s[8:9]
	v_cmp_gt_u32_e64 s[8:9], s34, v25
	s_and_saveexec_b64 s[10:11], s[8:9]
	s_cbranch_execnz .LBB45_34
.LBB45_6:                               ;   in Loop: Header=BB45_3 Depth=1
	s_or_b64 exec, exec, s[10:11]
	v_cmp_gt_u32_e64 s[10:11], s34, v26
	s_and_saveexec_b64 s[12:13], s[10:11]
	s_cbranch_execnz .LBB45_35
.LBB45_7:                               ;   in Loop: Header=BB45_3 Depth=1
	s_or_b64 exec, exec, s[12:13]
	v_cmp_gt_u32_e64 s[12:13], s34, v27
	s_and_saveexec_b64 s[14:15], s[12:13]
	s_cbranch_execnz .LBB45_36
.LBB45_8:                               ;   in Loop: Header=BB45_3 Depth=1
	s_or_b64 exec, exec, s[14:15]
	v_cmp_gt_u32_e64 s[14:15], s34, v28
	s_and_saveexec_b64 s[16:17], s[14:15]
	s_cbranch_execnz .LBB45_37
.LBB45_9:                               ;   in Loop: Header=BB45_3 Depth=1
	s_or_b64 exec, exec, s[16:17]
	v_cmp_gt_u32_e64 s[16:17], s34, v29
	s_and_saveexec_b64 s[18:19], s[16:17]
	s_cbranch_execnz .LBB45_38
.LBB45_10:                              ;   in Loop: Header=BB45_3 Depth=1
	s_or_b64 exec, exec, s[18:19]
	v_cmp_gt_u32_e64 s[18:19], s34, v30
	s_and_saveexec_b64 s[28:29], s[18:19]
	s_cbranch_execz .LBB45_12
.LBB45_11:                              ;   in Loop: Header=BB45_3 Depth=1
	global_load_dword v9, v[10:11], off offset:1792
.LBB45_12:                              ;   in Loop: Header=BB45_3 Depth=1
	s_or_b64 exec, exec, s[28:29]
	ds_write_b32 v31, v0
	s_waitcnt vmcnt(0)
	ds_write_b32 v32, v3
	ds_write_b32 v33, v4
	;; [unrolled: 1-line block ×7, first 2 shown]
	; wave barrier
	ds_read2_b32 v[16:17], v40 offset1:1
	ds_read2_b32 v[14:15], v40 offset0:2 offset1:3
	ds_read2_b32 v[12:13], v40 offset0:4 offset1:5
	;; [unrolled: 1-line block ×3, first 2 shown]
	s_mov_b32 s36, s27
	s_mov_b32 s37, s27
	v_mov_b32_e32 v0, s21
	v_add_co_u32_e64 v18, s[20:21], s20, v41
	s_mov_b32 s38, s27
	s_mov_b32 s39, s27
	;; [unrolled: 1-line block ×6, first 2 shown]
	v_pk_mov_b32 v[2:3], s[36:37], s[36:37] op_sel:[0,1]
	v_addc_co_u32_e64 v19, s[20:21], v42, v0, s[20:21]
	v_pk_mov_b32 v[4:5], s[38:39], s[38:39] op_sel:[0,1]
	v_pk_mov_b32 v[6:7], s[40:41], s[40:41] op_sel:[0,1]
	;; [unrolled: 1-line block ×3, first 2 shown]
	v_mov_b32_e32 v0, 0
	s_waitcnt lgkmcnt(0)
	s_barrier
	s_and_saveexec_b64 s[20:21], s[4:5]
	s_cbranch_execnz .LBB45_39
; %bb.13:                               ;   in Loop: Header=BB45_3 Depth=1
	s_or_b64 exec, exec, s[20:21]
	s_and_saveexec_b64 s[4:5], s[6:7]
	s_cbranch_execnz .LBB45_40
.LBB45_14:                              ;   in Loop: Header=BB45_3 Depth=1
	s_or_b64 exec, exec, s[4:5]
	s_and_saveexec_b64 s[4:5], s[8:9]
	s_cbranch_execnz .LBB45_41
.LBB45_15:                              ;   in Loop: Header=BB45_3 Depth=1
	s_or_b64 exec, exec, s[4:5]
	s_and_saveexec_b64 s[4:5], s[10:11]
	s_cbranch_execnz .LBB45_42
.LBB45_16:                              ;   in Loop: Header=BB45_3 Depth=1
	s_or_b64 exec, exec, s[4:5]
	s_and_saveexec_b64 s[4:5], s[12:13]
	s_cbranch_execnz .LBB45_43
.LBB45_17:                              ;   in Loop: Header=BB45_3 Depth=1
	s_or_b64 exec, exec, s[4:5]
	s_and_saveexec_b64 s[4:5], s[14:15]
	s_cbranch_execnz .LBB45_44
.LBB45_18:                              ;   in Loop: Header=BB45_3 Depth=1
	s_or_b64 exec, exec, s[4:5]
	s_and_saveexec_b64 s[4:5], s[16:17]
	s_cbranch_execnz .LBB45_45
.LBB45_19:                              ;   in Loop: Header=BB45_3 Depth=1
	s_or_b64 exec, exec, s[4:5]
	s_and_saveexec_b64 s[4:5], s[18:19]
	s_cbranch_execz .LBB45_21
.LBB45_20:                              ;   in Loop: Header=BB45_3 Depth=1
	global_load_dword v9, v[18:19], off offset:1792
.LBB45_21:                              ;   in Loop: Header=BB45_3 Depth=1
	s_or_b64 exec, exec, s[4:5]
	ds_write_b32 v31, v0
	s_waitcnt vmcnt(0)
	ds_write_b32 v32, v3
	ds_write_b32 v33, v4
	;; [unrolled: 1-line block ×7, first 2 shown]
	; wave barrier
	ds_read2_b32 v[2:3], v40 offset1:1
	ds_read2_b32 v[4:5], v40 offset0:2 offset1:3
	ds_read2_b32 v[6:7], v40 offset0:4 offset1:5
	;; [unrolled: 1-line block ×3, first 2 shown]
	v_mul_f32_e32 v0, s24, v16
	v_mul_f32_e32 v16, s24, v17
	;; [unrolled: 1-line block ×4, first 2 shown]
	s_waitcnt lgkmcnt(3)
	v_fmac_f32_e32 v0, s31, v2
	v_mul_f32_e32 v2, v43, v16
	v_mul_f32_e32 v15, s24, v15
	v_fmac_f32_e32 v2, s31, v3
	v_mul_f32_e32 v3, v43, v14
	v_mul_f32_e32 v12, s24, v12
	s_waitcnt lgkmcnt(2)
	v_fmac_f32_e32 v3, s31, v4
	v_mul_f32_e32 v4, v43, v15
	v_add_f32_e32 v0, v0, v2
	v_mul_f32_e32 v13, s24, v13
	v_fmac_f32_e32 v4, s31, v5
	v_mul_f32_e32 v5, v43, v12
	v_add_f32_e32 v0, v0, v3
	v_mul_f32_e32 v10, s24, v10
	s_waitcnt lgkmcnt(1)
	v_fmac_f32_e32 v5, s31, v6
	v_mul_f32_e32 v6, v43, v13
	v_add_f32_e32 v0, v0, v4
	v_mul_f32_e32 v11, s24, v11
	v_fmac_f32_e32 v6, s31, v7
	v_mul_f32_e32 v7, v43, v10
	v_add_f32_e32 v0, v0, v5
	s_waitcnt lgkmcnt(0)
	v_fmac_f32_e32 v7, s31, v8
	v_mul_f32_e32 v8, v43, v11
	v_add_f32_e32 v0, v0, v6
	v_fmac_f32_e32 v8, s31, v9
	v_add_f32_e32 v0, v0, v7
	v_add_f32_e32 v0, v0, v8
	ds_bpermute_b32 v2, v44, v0
	v_sub_u32_e64 v3, s34, v39 clamp
	v_cmp_lt_u32_e64 s[4:5], v45, v3
	s_waitcnt lgkmcnt(0)
	s_barrier
	v_add_f32_e32 v2, v0, v2
	v_cndmask_b32_e64 v0, v0, v2, s[4:5]
	ds_bpermute_b32 v2, v46, v0
	v_cmp_lt_u32_e64 s[4:5], v47, v3
	s_waitcnt lgkmcnt(0)
	v_add_f32_e32 v2, v0, v2
	v_cndmask_b32_e64 v0, v0, v2, s[4:5]
	ds_bpermute_b32 v2, v48, v0
	v_cmp_lt_u32_e64 s[4:5], v49, v3
	s_waitcnt lgkmcnt(0)
	;; [unrolled: 5-line block ×5, first 2 shown]
	v_add_f32_e32 v2, v0, v2
	v_cndmask_b32_e64 v0, v0, v2, s[4:5]
	s_and_saveexec_b64 s[4:5], vcc
	s_cbranch_execz .LBB45_23
; %bb.22:                               ;   in Loop: Header=BB45_3 Depth=1
	ds_write_b32 v56, v0
.LBB45_23:                              ;   in Loop: Header=BB45_3 Depth=1
	s_or_b64 exec, exec, s[4:5]
	s_waitcnt lgkmcnt(0)
	s_barrier
	s_and_saveexec_b64 s[8:9], s[0:1]
	s_cbranch_execz .LBB45_25
; %bb.24:                               ;   in Loop: Header=BB45_3 Depth=1
	ds_read_b32 v0, v20
	s_add_i32 s34, s34, 63
	s_lshr_b32 s10, s34, 6
	v_cmp_gt_u32_e64 s[4:5], s10, v57
	v_cmp_gt_u32_e64 s[6:7], s10, v59
	s_waitcnt lgkmcnt(0)
	ds_bpermute_b32 v2, v58, v0
	s_waitcnt lgkmcnt(0)
	v_add_f32_e32 v2, v0, v2
	v_cndmask_b32_e64 v2, v0, v2, s[4:5]
	ds_bpermute_b32 v3, v60, v2
	s_waitcnt lgkmcnt(0)
	v_add_f32_e32 v3, v2, v3
	v_cndmask_b32_e64 v2, v2, v3, s[6:7]
	ds_bpermute_b32 v3, v62, v2
	v_cmp_gt_u32_e64 s[6:7], s10, v61
	s_waitcnt lgkmcnt(0)
	v_add_f32_e32 v3, v2, v3
	v_cndmask_b32_e64 v2, v2, v3, s[6:7]
	v_cndmask_b32_e64 v0, v0, v2, s[4:5]
.LBB45_25:                              ;   in Loop: Header=BB45_3 Depth=1
	s_or_b64 exec, exec, s[8:9]
	s_and_saveexec_b64 s[6:7], s[2:3]
	s_cbranch_execz .LBB45_2
; %bb.26:                               ;   in Loop: Header=BB45_3 Depth=1
	s_mov_b64 s[4:5], exec
	v_bfrev_b32_e32 v4, 1
.LBB45_27:                              ;   Parent Loop BB45_3 Depth=1
                                        ; =>  This Inner Loop Header: Depth=2
	s_ff1_i32_b64 s8, s[4:5]
	v_readlane_b32 s10, v0, s8
	s_lshl_b64 s[8:9], 1, s8
	s_andn2_b64 s[4:5], s[4:5], s[8:9]
	s_cmp_lg_u64 s[4:5], 0
	v_add_f32_e32 v4, s10, v4
	s_cbranch_scc1 .LBB45_27
; %bb.28:                               ;   in Loop: Header=BB45_3 Depth=1
	v_mbcnt_lo_u32_b32 v0, exec_lo, 0
	v_mbcnt_hi_u32_b32 v0, exec_hi, v0
	v_cmp_eq_u32_e64 s[4:5], 0, v0
	s_and_saveexec_b64 s[8:9], s[4:5]
	s_xor_b64 s[8:9], exec, s[8:9]
	s_cbranch_execz .LBB45_2
; %bb.29:                               ;   in Loop: Header=BB45_3 Depth=1
	global_load_dword v3, v1, s[22:23]
	s_mov_b64 s[8:9], 0
.LBB45_30:                              ;   Parent Loop BB45_3 Depth=1
                                        ; =>  This Inner Loop Header: Depth=2
	s_waitcnt vmcnt(0)
	v_add_f32_e32 v2, v3, v4
	global_atomic_cmpswap v0, v1, v[2:3], s[22:23] glc
	s_waitcnt vmcnt(0)
	v_cmp_eq_u32_e64 s[4:5], v0, v3
	s_or_b64 s[8:9], s[4:5], s[8:9]
	v_mov_b32_e32 v3, v0
	s_andn2_b64 exec, exec, s[8:9]
	s_cbranch_execnz .LBB45_30
; %bb.31:                               ;   in Loop: Header=BB45_3 Depth=1
	s_or_b64 exec, exec, s[8:9]
	s_branch .LBB45_2
.LBB45_32:                              ;   in Loop: Header=BB45_3 Depth=1
	global_load_dword v0, v[10:11], off
	v_mov_b32_e32 v2, v1
	v_mov_b32_e32 v3, v1
	;; [unrolled: 1-line block ×6, first 2 shown]
	s_waitcnt vmcnt(0)
	v_pk_mov_b32 v[8:9], v[6:7], v[6:7] op_sel:[0,1]
	v_pk_mov_b32 v[6:7], v[4:5], v[4:5] op_sel:[0,1]
	;; [unrolled: 1-line block ×4, first 2 shown]
	s_or_b64 exec, exec, s[6:7]
	v_cmp_gt_u32_e64 s[6:7], s34, v24
	s_and_saveexec_b64 s[8:9], s[6:7]
	s_cbranch_execz .LBB45_5
.LBB45_33:                              ;   in Loop: Header=BB45_3 Depth=1
	global_load_dword v3, v[10:11], off offset:256
	s_or_b64 exec, exec, s[8:9]
	v_cmp_gt_u32_e64 s[8:9], s34, v25
	s_and_saveexec_b64 s[10:11], s[8:9]
	s_cbranch_execz .LBB45_6
.LBB45_34:                              ;   in Loop: Header=BB45_3 Depth=1
	global_load_dword v4, v[10:11], off offset:512
	s_or_b64 exec, exec, s[10:11]
	v_cmp_gt_u32_e64 s[10:11], s34, v26
	s_and_saveexec_b64 s[12:13], s[10:11]
	s_cbranch_execz .LBB45_7
.LBB45_35:                              ;   in Loop: Header=BB45_3 Depth=1
	global_load_dword v5, v[10:11], off offset:768
	s_or_b64 exec, exec, s[12:13]
	v_cmp_gt_u32_e64 s[12:13], s34, v27
	s_and_saveexec_b64 s[14:15], s[12:13]
	s_cbranch_execz .LBB45_8
.LBB45_36:                              ;   in Loop: Header=BB45_3 Depth=1
	global_load_dword v6, v[10:11], off offset:1024
	s_or_b64 exec, exec, s[14:15]
	v_cmp_gt_u32_e64 s[14:15], s34, v28
	s_and_saveexec_b64 s[16:17], s[14:15]
	s_cbranch_execz .LBB45_9
.LBB45_37:                              ;   in Loop: Header=BB45_3 Depth=1
	global_load_dword v7, v[10:11], off offset:1280
	s_or_b64 exec, exec, s[16:17]
	v_cmp_gt_u32_e64 s[16:17], s34, v29
	s_and_saveexec_b64 s[18:19], s[16:17]
	s_cbranch_execz .LBB45_10
.LBB45_38:                              ;   in Loop: Header=BB45_3 Depth=1
	global_load_dword v8, v[10:11], off offset:1536
	s_or_b64 exec, exec, s[18:19]
	v_cmp_gt_u32_e64 s[18:19], s34, v30
	s_and_saveexec_b64 s[28:29], s[18:19]
	s_cbranch_execnz .LBB45_11
	s_branch .LBB45_12
.LBB45_39:                              ;   in Loop: Header=BB45_3 Depth=1
	global_load_dword v0, v[18:19], off
	v_mov_b32_e32 v2, v1
	v_mov_b32_e32 v3, v1
	;; [unrolled: 1-line block ×6, first 2 shown]
	s_waitcnt vmcnt(0)
	v_pk_mov_b32 v[8:9], v[6:7], v[6:7] op_sel:[0,1]
	v_pk_mov_b32 v[6:7], v[4:5], v[4:5] op_sel:[0,1]
	;; [unrolled: 1-line block ×4, first 2 shown]
	s_or_b64 exec, exec, s[20:21]
	s_and_saveexec_b64 s[4:5], s[6:7]
	s_cbranch_execz .LBB45_14
.LBB45_40:                              ;   in Loop: Header=BB45_3 Depth=1
	global_load_dword v3, v[18:19], off offset:256
	s_or_b64 exec, exec, s[4:5]
	s_and_saveexec_b64 s[4:5], s[8:9]
	s_cbranch_execz .LBB45_15
.LBB45_41:                              ;   in Loop: Header=BB45_3 Depth=1
	global_load_dword v4, v[18:19], off offset:512
	s_or_b64 exec, exec, s[4:5]
	s_and_saveexec_b64 s[4:5], s[10:11]
	s_cbranch_execz .LBB45_16
.LBB45_42:                              ;   in Loop: Header=BB45_3 Depth=1
	global_load_dword v5, v[18:19], off offset:768
	s_or_b64 exec, exec, s[4:5]
	s_and_saveexec_b64 s[4:5], s[12:13]
	s_cbranch_execz .LBB45_17
.LBB45_43:                              ;   in Loop: Header=BB45_3 Depth=1
	global_load_dword v6, v[18:19], off offset:1024
	s_or_b64 exec, exec, s[4:5]
	s_and_saveexec_b64 s[4:5], s[14:15]
	s_cbranch_execz .LBB45_18
.LBB45_44:                              ;   in Loop: Header=BB45_3 Depth=1
	global_load_dword v7, v[18:19], off offset:1280
	s_or_b64 exec, exec, s[4:5]
	s_and_saveexec_b64 s[4:5], s[16:17]
	s_cbranch_execz .LBB45_19
.LBB45_45:                              ;   in Loop: Header=BB45_3 Depth=1
	global_load_dword v8, v[18:19], off offset:1536
	s_or_b64 exec, exec, s[4:5]
	s_and_saveexec_b64 s[4:5], s[18:19]
	s_cbranch_execnz .LBB45_20
	s_branch .LBB45_21
.LBB45_46:
	s_endpgm
	.section	.rodata,"a",@progbits
	.p2align	6, 0x0
	.amdhsa_kernel _Z33kPreconditionOptimizer32bit1StateIfLi5ELi4096ELi8EEvPT_S1_PfS2_ffffiffi
		.amdhsa_group_segment_fixed_size 16896
		.amdhsa_private_segment_fixed_size 0
		.amdhsa_kernarg_size 320
		.amdhsa_user_sgpr_count 6
		.amdhsa_user_sgpr_private_segment_buffer 1
		.amdhsa_user_sgpr_dispatch_ptr 0
		.amdhsa_user_sgpr_queue_ptr 0
		.amdhsa_user_sgpr_kernarg_segment_ptr 1
		.amdhsa_user_sgpr_dispatch_id 0
		.amdhsa_user_sgpr_flat_scratch_init 0
		.amdhsa_user_sgpr_kernarg_preload_length 0
		.amdhsa_user_sgpr_kernarg_preload_offset 0
		.amdhsa_user_sgpr_private_segment_size 0
		.amdhsa_uses_dynamic_stack 0
		.amdhsa_system_sgpr_private_segment_wavefront_offset 0
		.amdhsa_system_sgpr_workgroup_id_x 1
		.amdhsa_system_sgpr_workgroup_id_y 0
		.amdhsa_system_sgpr_workgroup_id_z 0
		.amdhsa_system_sgpr_workgroup_info 0
		.amdhsa_system_vgpr_workitem_id 0
		.amdhsa_next_free_vgpr 63
		.amdhsa_next_free_sgpr 44
		.amdhsa_accum_offset 64
		.amdhsa_reserve_vcc 1
		.amdhsa_reserve_flat_scratch 0
		.amdhsa_float_round_mode_32 0
		.amdhsa_float_round_mode_16_64 0
		.amdhsa_float_denorm_mode_32 3
		.amdhsa_float_denorm_mode_16_64 3
		.amdhsa_dx10_clamp 1
		.amdhsa_ieee_mode 1
		.amdhsa_fp16_overflow 0
		.amdhsa_tg_split 0
		.amdhsa_exception_fp_ieee_invalid_op 0
		.amdhsa_exception_fp_denorm_src 0
		.amdhsa_exception_fp_ieee_div_zero 0
		.amdhsa_exception_fp_ieee_overflow 0
		.amdhsa_exception_fp_ieee_underflow 0
		.amdhsa_exception_fp_ieee_inexact 0
		.amdhsa_exception_int_div_zero 0
	.end_amdhsa_kernel
	.section	.text._Z33kPreconditionOptimizer32bit1StateIfLi5ELi4096ELi8EEvPT_S1_PfS2_ffffiffi,"axG",@progbits,_Z33kPreconditionOptimizer32bit1StateIfLi5ELi4096ELi8EEvPT_S1_PfS2_ffffiffi,comdat
.Lfunc_end45:
	.size	_Z33kPreconditionOptimizer32bit1StateIfLi5ELi4096ELi8EEvPT_S1_PfS2_ffffiffi, .Lfunc_end45-_Z33kPreconditionOptimizer32bit1StateIfLi5ELi4096ELi8EEvPT_S1_PfS2_ffffiffi
                                        ; -- End function
	.section	.AMDGPU.csdata,"",@progbits
; Kernel info:
; codeLenInByte = 2524
; NumSgprs: 48
; NumVgprs: 63
; NumAgprs: 0
; TotalNumVgprs: 63
; ScratchSize: 0
; MemoryBound: 0
; FloatMode: 240
; IeeeMode: 1
; LDSByteSize: 16896 bytes/workgroup (compile time only)
; SGPRBlocks: 5
; VGPRBlocks: 7
; NumSGPRsForWavesPerEU: 48
; NumVGPRsForWavesPerEU: 63
; AccumOffset: 64
; Occupancy: 6
; WaveLimiterHint : 0
; COMPUTE_PGM_RSRC2:SCRATCH_EN: 0
; COMPUTE_PGM_RSRC2:USER_SGPR: 6
; COMPUTE_PGM_RSRC2:TRAP_HANDLER: 0
; COMPUTE_PGM_RSRC2:TGID_X_EN: 1
; COMPUTE_PGM_RSRC2:TGID_Y_EN: 0
; COMPUTE_PGM_RSRC2:TGID_Z_EN: 0
; COMPUTE_PGM_RSRC2:TIDIG_COMP_CNT: 0
; COMPUTE_PGM_RSRC3_GFX90A:ACCUM_OFFSET: 15
; COMPUTE_PGM_RSRC3_GFX90A:TG_SPLIT: 0
	.section	.text._Z33kPreconditionOptimizer32bit1StateI12hip_bfloat16Li5ELi4096ELi8EEvPT_S2_PfS3_ffffiffi,"axG",@progbits,_Z33kPreconditionOptimizer32bit1StateI12hip_bfloat16Li5ELi4096ELi8EEvPT_S2_PfS3_ffffiffi,comdat
